;; amdgpu-corpus repo=ROCm/rocFFT kind=compiled arch=gfx906 opt=O3
	.text
	.amdgcn_target "amdgcn-amd-amdhsa--gfx906"
	.amdhsa_code_object_version 6
	.protected	fft_rtc_back_len121_factors_11_11_wgs_121_tpt_11_dp_op_CI_CI_sbcc_twdbase8_3step_dirReg_intrinsicRead ; -- Begin function fft_rtc_back_len121_factors_11_11_wgs_121_tpt_11_dp_op_CI_CI_sbcc_twdbase8_3step_dirReg_intrinsicRead
	.globl	fft_rtc_back_len121_factors_11_11_wgs_121_tpt_11_dp_op_CI_CI_sbcc_twdbase8_3step_dirReg_intrinsicRead
	.p2align	8
	.type	fft_rtc_back_len121_factors_11_11_wgs_121_tpt_11_dp_op_CI_CI_sbcc_twdbase8_3step_dirReg_intrinsicRead,@function
fft_rtc_back_len121_factors_11_11_wgs_121_tpt_11_dp_op_CI_CI_sbcc_twdbase8_3step_dirReg_intrinsicRead: ; @fft_rtc_back_len121_factors_11_11_wgs_121_tpt_11_dp_op_CI_CI_sbcc_twdbase8_3step_dirReg_intrinsicRead
; %bb.0:
	s_load_dwordx4 s[0:3], s[4:5], 0x18
	s_load_dwordx2 s[24:25], s[4:5], 0x28
	s_mov_b32 s7, 0
	s_mov_b64 s[26:27], 0
	s_waitcnt lgkmcnt(0)
	s_load_dwordx2 s[28:29], s[0:1], 0x8
	s_waitcnt lgkmcnt(0)
	s_add_u32 s8, s28, -1
	s_addc_u32 s9, s29, -1
	s_add_u32 s10, 0, 0x5d161400
	s_addc_u32 s11, 0, 0x54
	s_mul_hi_u32 s13, s10, -11
	s_add_i32 s11, s11, 0x1745d120
	s_sub_i32 s13, s13, s10
	s_mul_i32 s16, s11, -11
	s_mul_i32 s12, s10, -11
	s_add_i32 s13, s13, s16
	s_mul_hi_u32 s14, s11, s12
	s_mul_i32 s15, s11, s12
	s_mul_i32 s17, s10, s13
	s_mul_hi_u32 s12, s10, s12
	s_mul_hi_u32 s16, s10, s13
	s_add_u32 s12, s12, s17
	s_addc_u32 s16, 0, s16
	s_add_u32 s12, s12, s15
	s_mul_hi_u32 s17, s11, s13
	s_addc_u32 s12, s16, s14
	s_addc_u32 s14, s17, 0
	s_mul_i32 s13, s11, s13
	s_add_u32 s12, s12, s13
	v_mov_b32_e32 v1, s12
	s_addc_u32 s13, 0, s14
	v_add_co_u32_e32 v1, vcc, s10, v1
	s_cmp_lg_u64 vcc, 0
	s_addc_u32 s10, s11, s13
	v_readfirstlane_b32 s13, v1
	s_mul_i32 s12, s8, s10
	s_mul_hi_u32 s14, s8, s13
	s_mul_hi_u32 s11, s8, s10
	s_add_u32 s12, s14, s12
	s_addc_u32 s11, 0, s11
	s_mul_hi_u32 s15, s9, s13
	s_mul_i32 s13, s9, s13
	s_add_u32 s12, s12, s13
	s_mul_hi_u32 s14, s9, s10
	s_addc_u32 s11, s11, s15
	s_addc_u32 s12, s14, 0
	s_mul_i32 s10, s9, s10
	s_add_u32 s10, s11, s10
	s_addc_u32 s11, 0, s12
	s_add_u32 s12, s10, 1
	s_addc_u32 s13, s11, 0
	s_add_u32 s14, s10, 2
	s_mul_i32 s16, s11, 11
	s_mul_hi_u32 s17, s10, 11
	s_addc_u32 s15, s11, 0
	s_add_i32 s17, s17, s16
	s_mul_i32 s16, s10, 11
	v_mov_b32_e32 v1, s16
	v_sub_co_u32_e32 v1, vcc, s8, v1
	s_cmp_lg_u64 vcc, 0
	s_subb_u32 s8, s9, s17
	v_subrev_co_u32_e32 v2, vcc, 11, v1
	s_cmp_lg_u64 vcc, 0
	s_subb_u32 s9, s8, 0
	v_readfirstlane_b32 s16, v2
	s_cmp_gt_u32 s16, 10
	s_cselect_b32 s16, -1, 0
	s_cmp_eq_u32 s9, 0
	s_cselect_b32 s9, s16, -1
	s_cmp_lg_u32 s9, 0
	s_cselect_b32 s9, s14, s12
	s_cselect_b32 s12, s15, s13
	v_readfirstlane_b32 s13, v1
	s_cmp_gt_u32 s13, 10
	s_cselect_b32 s13, -1, 0
	s_cmp_eq_u32 s8, 0
	s_cselect_b32 s8, s13, -1
	s_cmp_lg_u32 s8, 0
	s_cselect_b32 s9, s9, s10
	s_cselect_b32 s8, s12, s11
	s_add_u32 s30, s9, 1
	s_addc_u32 s31, s8, 0
	v_mov_b32_e32 v1, s30
	v_mov_b32_e32 v2, s31
	v_cmp_lt_u64_e32 vcc, s[6:7], v[1:2]
	s_cbranch_vccnz .LBB0_2
; %bb.1:
	v_cvt_f32_u32_e32 v1, s30
	s_sub_i32 s8, 0, s30
	s_mov_b32 s27, s7
	v_rcp_iflag_f32_e32 v1, v1
	v_mul_f32_e32 v1, 0x4f7ffffe, v1
	v_cvt_u32_f32_e32 v1, v1
	v_readfirstlane_b32 s9, v1
	s_mul_i32 s8, s8, s9
	s_mul_hi_u32 s8, s9, s8
	s_add_i32 s9, s9, s8
	s_mul_hi_u32 s8, s6, s9
	s_mul_i32 s10, s8, s30
	s_sub_i32 s10, s6, s10
	s_add_i32 s9, s8, 1
	s_sub_i32 s11, s10, s30
	s_cmp_ge_u32 s10, s30
	s_cselect_b32 s8, s9, s8
	s_cselect_b32 s10, s11, s10
	s_add_i32 s9, s8, 1
	s_cmp_ge_u32 s10, s30
	s_cselect_b32 s26, s9, s8
.LBB0_2:
	s_load_dwordx4 s[12:15], s[4:5], 0x60
	s_load_dwordx4 s[20:23], s[2:3], 0x0
	;; [unrolled: 1-line block ×3, first 2 shown]
	s_load_dwordx2 s[42:43], s[4:5], 0x0
	s_load_dwordx4 s[16:19], s[4:5], 0x8
	s_mul_i32 s4, s26, s31
	s_mul_hi_u32 s5, s26, s30
	s_add_i32 s5, s5, s4
	s_mul_i32 s4, s26, s30
	s_sub_u32 s33, s6, s4
	s_subb_u32 s4, 0, s5
	s_mul_i32 s4, s4, 11
	s_waitcnt lgkmcnt(0)
	s_mul_hi_u32 s21, s33, 11
	s_add_i32 s21, s21, s4
	s_mul_i32 s33, s33, 11
	s_mul_i32 s4, s22, s21
	s_mul_hi_u32 s5, s22, s33
	s_add_i32 s4, s5, s4
	s_mul_i32 s5, s23, s33
	s_add_i32 s50, s4, s5
	s_mul_i32 s4, s10, s21
	s_mul_hi_u32 s5, s10, s33
	v_cmp_lt_u64_e64 s[34:35], s[18:19], 3
	s_add_i32 s4, s5, s4
	s_mul_i32 s5, s11, s33
	s_mul_i32 s23, s22, s33
	s_add_i32 s5, s4, s5
	s_mul_i32 s4, s10, s33
	s_and_b64 vcc, exec, s[34:35]
	s_cbranch_vccnz .LBB0_12
; %bb.3:
	s_add_u32 s34, s24, 16
	s_addc_u32 s35, s25, 0
	s_add_u32 s36, s2, 16
	s_addc_u32 s37, s3, 0
	s_add_u32 s38, s0, 16
	v_mov_b32_e32 v1, s18
	s_addc_u32 s39, s1, 0
	s_mov_b64 s[40:41], 2
	s_mov_b32 s44, 0
	v_mov_b32_e32 v2, s19
.LBB0_4:                                ; =>This Inner Loop Header: Depth=1
	s_load_dwordx2 s[46:47], s[38:39], 0x0
	s_waitcnt lgkmcnt(0)
	s_or_b64 s[0:1], s[26:27], s[46:47]
	s_mov_b32 s45, s1
	s_cmp_lg_u64 s[44:45], 0
	s_cbranch_scc0 .LBB0_9
; %bb.5:                                ;   in Loop: Header=BB0_4 Depth=1
	v_cvt_f32_u32_e32 v3, s46
	v_cvt_f32_u32_e32 v4, s47
	s_sub_u32 s0, 0, s46
	s_subb_u32 s1, 0, s47
	v_mac_f32_e32 v3, 0x4f800000, v4
	v_rcp_f32_e32 v3, v3
	v_mul_f32_e32 v3, 0x5f7ffffc, v3
	v_mul_f32_e32 v4, 0x2f800000, v3
	v_trunc_f32_e32 v4, v4
	v_mac_f32_e32 v3, 0xcf800000, v4
	v_cvt_u32_f32_e32 v4, v4
	v_cvt_u32_f32_e32 v3, v3
	v_readfirstlane_b32 s45, v4
	v_readfirstlane_b32 s48, v3
	s_mul_i32 s49, s0, s45
	s_mul_hi_u32 s52, s0, s48
	s_mul_i32 s51, s1, s48
	s_add_i32 s49, s52, s49
	s_mul_i32 s53, s0, s48
	s_add_i32 s49, s49, s51
	s_mul_hi_u32 s51, s48, s49
	s_mul_i32 s52, s48, s49
	s_mul_hi_u32 s48, s48, s53
	s_add_u32 s48, s48, s52
	s_addc_u32 s51, 0, s51
	s_mul_hi_u32 s54, s45, s53
	s_mul_i32 s53, s45, s53
	s_add_u32 s48, s48, s53
	s_mul_hi_u32 s52, s45, s49
	s_addc_u32 s48, s51, s54
	s_addc_u32 s51, s52, 0
	s_mul_i32 s49, s45, s49
	s_add_u32 s48, s48, s49
	s_addc_u32 s49, 0, s51
	v_add_co_u32_e32 v3, vcc, s48, v3
	s_cmp_lg_u64 vcc, 0
	s_addc_u32 s45, s45, s49
	v_readfirstlane_b32 s49, v3
	s_mul_i32 s48, s0, s45
	s_mul_hi_u32 s51, s0, s49
	s_add_i32 s48, s51, s48
	s_mul_i32 s1, s1, s49
	s_add_i32 s48, s48, s1
	s_mul_i32 s0, s0, s49
	s_mul_hi_u32 s51, s45, s0
	s_mul_i32 s52, s45, s0
	s_mul_i32 s54, s49, s48
	s_mul_hi_u32 s0, s49, s0
	s_mul_hi_u32 s53, s49, s48
	s_add_u32 s0, s0, s54
	s_addc_u32 s49, 0, s53
	s_add_u32 s0, s0, s52
	s_mul_hi_u32 s1, s45, s48
	s_addc_u32 s0, s49, s51
	s_addc_u32 s1, s1, 0
	s_mul_i32 s48, s45, s48
	s_add_u32 s0, s0, s48
	s_addc_u32 s1, 0, s1
	v_add_co_u32_e32 v3, vcc, s0, v3
	s_cmp_lg_u64 vcc, 0
	s_addc_u32 s0, s45, s1
	v_readfirstlane_b32 s48, v3
	s_mul_i32 s45, s26, s0
	s_mul_hi_u32 s49, s26, s48
	s_mul_hi_u32 s1, s26, s0
	s_add_u32 s45, s49, s45
	s_addc_u32 s1, 0, s1
	s_mul_hi_u32 s51, s27, s48
	s_mul_i32 s48, s27, s48
	s_add_u32 s45, s45, s48
	s_mul_hi_u32 s49, s27, s0
	s_addc_u32 s1, s1, s51
	s_addc_u32 s45, s49, 0
	s_mul_i32 s0, s27, s0
	s_add_u32 s48, s1, s0
	s_addc_u32 s45, 0, s45
	s_mul_i32 s0, s46, s45
	s_mul_hi_u32 s1, s46, s48
	s_add_i32 s0, s1, s0
	s_mul_i32 s1, s47, s48
	s_add_i32 s49, s0, s1
	s_mul_i32 s1, s46, s48
	v_mov_b32_e32 v3, s1
	s_sub_i32 s0, s27, s49
	v_sub_co_u32_e32 v3, vcc, s26, v3
	s_cmp_lg_u64 vcc, 0
	s_subb_u32 s51, s0, s47
	v_subrev_co_u32_e64 v4, s[0:1], s46, v3
	s_cmp_lg_u64 s[0:1], 0
	s_subb_u32 s0, s51, 0
	s_cmp_ge_u32 s0, s47
	v_readfirstlane_b32 s51, v4
	s_cselect_b32 s1, -1, 0
	s_cmp_ge_u32 s51, s46
	s_cselect_b32 s51, -1, 0
	s_cmp_eq_u32 s0, s47
	s_cselect_b32 s0, s51, s1
	s_add_u32 s1, s48, 1
	s_addc_u32 s51, s45, 0
	s_add_u32 s52, s48, 2
	s_addc_u32 s53, s45, 0
	s_cmp_lg_u32 s0, 0
	s_cselect_b32 s0, s52, s1
	s_cselect_b32 s1, s53, s51
	s_cmp_lg_u64 vcc, 0
	s_subb_u32 s49, s27, s49
	s_cmp_ge_u32 s49, s47
	v_readfirstlane_b32 s52, v3
	s_cselect_b32 s51, -1, 0
	s_cmp_ge_u32 s52, s46
	s_cselect_b32 s52, -1, 0
	s_cmp_eq_u32 s49, s47
	s_cselect_b32 s49, s52, s51
	s_cmp_lg_u32 s49, 0
	s_cselect_b32 s1, s1, s45
	s_cselect_b32 s0, s0, s48
	s_cbranch_execnz .LBB0_7
.LBB0_6:                                ;   in Loop: Header=BB0_4 Depth=1
	v_cvt_f32_u32_e32 v3, s46
	s_sub_i32 s0, 0, s46
	v_rcp_iflag_f32_e32 v3, v3
	v_mul_f32_e32 v3, 0x4f7ffffe, v3
	v_cvt_u32_f32_e32 v3, v3
	v_readfirstlane_b32 s1, v3
	s_mul_i32 s0, s0, s1
	s_mul_hi_u32 s0, s1, s0
	s_add_i32 s1, s1, s0
	s_mul_hi_u32 s0, s26, s1
	s_mul_i32 s45, s0, s46
	s_sub_i32 s45, s26, s45
	s_add_i32 s1, s0, 1
	s_sub_i32 s48, s45, s46
	s_cmp_ge_u32 s45, s46
	s_cselect_b32 s0, s1, s0
	s_cselect_b32 s45, s48, s45
	s_add_i32 s1, s0, 1
	s_cmp_ge_u32 s45, s46
	s_cselect_b32 s0, s1, s0
	s_mov_b32 s1, s44
.LBB0_7:                                ;   in Loop: Header=BB0_4 Depth=1
	s_mul_i32 s31, s46, s31
	s_mul_hi_u32 s45, s46, s30
	s_add_i32 s31, s45, s31
	s_mul_i32 s45, s47, s30
	s_add_i32 s31, s31, s45
	s_mul_i32 s45, s0, s47
	s_mul_hi_u32 s47, s0, s46
	s_load_dwordx2 s[48:49], s[36:37], 0x0
	s_add_i32 s45, s47, s45
	s_mul_i32 s47, s1, s46
	s_mul_i32 s30, s46, s30
	s_add_i32 s45, s45, s47
	s_mul_i32 s46, s0, s46
	s_sub_u32 s46, s26, s46
	s_subb_u32 s45, s27, s45
	s_waitcnt lgkmcnt(0)
	s_mul_i32 s26, s48, s45
	s_mul_hi_u32 s27, s48, s46
	s_add_i32 s47, s27, s26
	s_load_dwordx2 s[26:27], s[34:35], 0x0
	s_mul_i32 s49, s49, s46
	s_add_i32 s47, s47, s49
	s_mul_i32 s48, s48, s46
	s_add_u32 s23, s48, s23
	s_addc_u32 s50, s47, s50
	s_waitcnt lgkmcnt(0)
	s_mul_i32 s45, s26, s45
	s_mul_hi_u32 s47, s26, s46
	s_add_i32 s45, s47, s45
	s_mul_i32 s27, s27, s46
	s_add_i32 s45, s45, s27
	s_mul_i32 s26, s26, s46
	s_add_u32 s4, s26, s4
	s_addc_u32 s5, s45, s5
	s_add_u32 s40, s40, 1
	s_addc_u32 s41, s41, 0
	;; [unrolled: 2-line block ×4, first 2 shown]
	v_cmp_ge_u64_e32 vcc, s[40:41], v[1:2]
	s_add_u32 s38, s38, 8
	s_addc_u32 s39, s39, 0
	s_cbranch_vccnz .LBB0_10
; %bb.8:                                ;   in Loop: Header=BB0_4 Depth=1
	s_mov_b64 s[26:27], s[0:1]
	s_branch .LBB0_4
.LBB0_9:                                ;   in Loop: Header=BB0_4 Depth=1
                                        ; implicit-def: $sgpr0_sgpr1
	s_branch .LBB0_6
.LBB0_10:
	v_mov_b32_e32 v1, s30
	v_mov_b32_e32 v2, s31
	v_cmp_lt_u64_e32 vcc, s[6:7], v[1:2]
	s_mov_b64 s[26:27], 0
	s_cbranch_vccnz .LBB0_12
; %bb.11:
	v_cvt_f32_u32_e32 v1, s30
	s_sub_i32 s0, 0, s30
	v_rcp_iflag_f32_e32 v1, v1
	v_mul_f32_e32 v1, 0x4f7ffffe, v1
	v_cvt_u32_f32_e32 v1, v1
	v_readfirstlane_b32 s1, v1
	s_mul_i32 s0, s0, s1
	s_mul_hi_u32 s0, s1, s0
	s_add_i32 s1, s1, s0
	s_mul_hi_u32 s0, s6, s1
	s_mul_i32 s7, s0, s30
	s_sub_i32 s6, s6, s7
	s_add_i32 s1, s0, 1
	s_sub_i32 s7, s6, s30
	s_cmp_ge_u32 s6, s30
	s_cselect_b32 s0, s1, s0
	s_cselect_b32 s6, s7, s6
	s_add_i32 s1, s0, 1
	s_cmp_ge_u32 s6, s30
	s_cselect_b32 s26, s1, s0
.LBB0_12:
	s_lshl_b64 s[6:7], s[18:19], 3
	s_add_u32 s0, s2, s6
	s_addc_u32 s1, s3, s7
	s_load_dword s0, s[0:1], 0x0
	v_mul_u32_u24_e32 v1, 0x1746, v0
	v_lshrrev_b32_e32 v25, 16, v1
	v_mul_lo_u16_e32 v1, 11, v25
	v_sub_u16_e32 v134, v0, v1
	s_waitcnt lgkmcnt(0)
	s_mul_i32 s0, s0, s26
	s_add_i32 s2, s0, s23
	v_mov_b32_e32 v1, s21
	v_add_co_u32_e32 v91, vcc, s33, v134
	v_addc_co_u32_e32 v92, vcc, 0, v1, vcc
	s_add_u32 s0, s33, 11
	v_mul_lo_u32 v17, s22, v134
	v_mul_lo_u32 v3, s20, v25
	v_mov_b32_e32 v1, s28
	s_addc_u32 s1, s21, 0
	v_mov_b32_e32 v2, s29
	v_cmp_le_u64_e32 vcc, s[0:1], v[1:2]
	v_cmp_gt_u64_e64 s[0:1], s[28:29], v[91:92]
	v_add_lshl_u32 v1, v17, v3, 4
	s_or_b64 vcc, vcc, s[0:1]
	v_cndmask_b32_e32 v9, -1, v1, vcc
	v_add_u32_e32 v1, 11, v25
	v_mul_lo_u32 v1, s20, v1
	s_lshl_b32 s18, s2, 4
	s_mov_b32 s3, 0x20000
	s_mov_b32 s2, -2
	v_add_lshl_u32 v1, v17, v1, 4
	v_cndmask_b32_e32 v10, -1, v1, vcc
	v_add_u32_e32 v1, 22, v25
	s_mov_b32 s0, s12
	s_mov_b32 s1, s13
	v_mul_lo_u32 v11, s20, v1
	v_add_u32_e32 v1, 33, v25
	v_mul_lo_u32 v12, s20, v1
	buffer_load_dwordx4 v[1:4], v9, s[0:3], s18 offen
	buffer_load_dwordx4 v[5:8], v10, s[0:3], s18 offen
	v_add_lshl_u32 v9, v17, v11, 4
	v_cndmask_b32_e32 v18, -1, v9, vcc
	v_add_lshl_u32 v9, v17, v12, 4
	v_cndmask_b32_e32 v19, -1, v9, vcc
	buffer_load_dwordx4 v[9:12], v18, s[0:3], s18 offen
	buffer_load_dwordx4 v[13:16], v19, s[0:3], s18 offen
	v_add_u32_e32 v18, 44, v25
	v_add_u32_e32 v19, 55, v25
	v_add_u32_e32 v20, 0x42, v25
	v_mul_lo_u32 v18, s20, v18
	v_mul_lo_u32 v19, s20, v19
	;; [unrolled: 1-line block ×3, first 2 shown]
	v_add_u32_e32 v20, 0x4d, v25
	v_mul_lo_u32 v23, s20, v20
	v_add_lshl_u32 v18, v17, v18, 4
	v_add_lshl_u32 v19, v17, v19, 4
	;; [unrolled: 1-line block ×3, first 2 shown]
	v_cndmask_b32_e32 v24, -1, v18, vcc
	v_cndmask_b32_e32 v30, -1, v19, vcc
	v_add_lshl_u32 v23, v17, v23, 4
	v_cndmask_b32_e32 v22, -1, v22, vcc
	buffer_load_dwordx4 v[18:21], v24, s[0:3], s18 offen
	buffer_load_dwordx4 v[26:29], v30, s[0:3], s18 offen
	s_mov_b32 s38, 0xf8bb580b
	buffer_load_dwordx4 v[30:33], v22, s[0:3], s18 offen
	v_cndmask_b32_e32 v22, -1, v23, vcc
	buffer_load_dwordx4 v[34:37], v22, s[0:3], s18 offen
	v_add_u32_e32 v22, 0x58, v25
	v_mul_lo_u32 v22, s20, v22
	v_add_u32_e32 v23, 0x63, v25
	v_mul_lo_u32 v23, s20, v23
	s_mov_b32 s44, 0x8eee2c13
	v_add_lshl_u32 v22, v17, v22, 4
	v_cndmask_b32_e32 v22, -1, v22, vcc
	buffer_load_dwordx4 v[38:41], v22, s[0:3], s18 offen
	v_add_lshl_u32 v23, v17, v23, 4
	v_cndmask_b32_e32 v23, -1, v23, vcc
	buffer_load_dwordx4 v[42:45], v23, s[0:3], s18 offen
	v_add_u32_e32 v22, 0x6e, v25
	v_mul_lo_u32 v22, s20, v22
	s_mov_b32 s39, 0xbfe14ced
	s_mov_b32 s45, 0xbfed1bb4
	;; [unrolled: 1-line block ×3, first 2 shown]
	v_add_lshl_u32 v17, v17, v22, 4
	v_cndmask_b32_e32 v17, -1, v17, vcc
	buffer_load_dwordx4 v[46:49], v17, s[0:3], s18 offen
	s_mov_b32 s18, 0xd9c712b6
	s_mov_b32 s22, 0x43842ef
	;; [unrolled: 1-line block ×25, first 2 shown]
	s_movk_i32 s27, 0x790
	s_waitcnt vmcnt(9)
	v_add_f64 v[22:23], v[1:2], v[5:6]
	v_add_f64 v[50:51], v[3:4], v[7:8]
	s_waitcnt vmcnt(8)
	v_add_f64 v[22:23], v[22:23], v[9:10]
	v_add_f64 v[50:51], v[50:51], v[11:12]
	;; [unrolled: 3-line block ×4, first 2 shown]
	v_add_f64 v[50:51], v[50:51], v[20:21]
	s_waitcnt vmcnt(3)
	v_add_f64 v[60:61], v[18:19], v[34:35]
	v_add_f64 v[64:65], v[18:19], -v[34:35]
	v_add_f64 v[62:63], v[20:21], v[36:37]
	v_add_f64 v[66:67], v[20:21], -v[36:37]
	;; [unrolled: 2-line block ×3, first 2 shown]
	v_add_f64 v[58:59], v[28:29], -v[32:33]
	s_waitcnt vmcnt(2)
	v_add_f64 v[68:69], v[13:14], v[38:39]
	v_add_f64 v[70:71], v[15:16], v[40:41]
	v_add_f64 v[72:73], v[13:14], -v[38:39]
	v_add_f64 v[74:75], v[15:16], -v[40:41]
	v_add_f64 v[13:14], v[22:23], v[26:27]
	v_add_f64 v[15:16], v[50:51], v[28:29]
	s_waitcnt vmcnt(1)
	v_add_f64 v[76:77], v[11:12], v[44:45]
	v_add_f64 v[80:81], v[11:12], -v[44:45]
	v_add_f64 v[50:51], v[9:10], v[42:43]
	v_add_f64 v[78:79], v[9:10], -v[42:43]
	v_mul_f64 v[94:95], v[70:71], s[12:13]
	s_waitcnt vmcnt(0)
	v_add_f64 v[17:18], v[7:8], -v[48:49]
	v_add_f64 v[11:12], v[13:14], v[30:31]
	v_add_f64 v[13:14], v[15:16], v[32:33]
	;; [unrolled: 1-line block ×4, first 2 shown]
	v_add_f64 v[19:20], v[5:6], -v[46:47]
	v_mul_f64 v[92:93], v[74:75], s[22:23]
	v_mul_f64 v[104:105], v[70:71], s[20:21]
	;; [unrolled: 1-line block ×3, first 2 shown]
	v_add_f64 v[11:12], v[11:12], v[34:35]
	v_add_f64 v[13:14], v[13:14], v[36:37]
	v_mul_f64 v[7:8], v[17:18], s[44:45]
	v_mul_f64 v[21:22], v[17:18], s[22:23]
	;; [unrolled: 1-line block ×6, first 2 shown]
	v_add_f64 v[11:12], v[11:12], v[38:39]
	v_add_f64 v[13:14], v[13:14], v[40:41]
	v_mul_f64 v[30:31], v[15:16], s[12:13]
	v_mul_f64 v[32:33], v[15:16], s[2:3]
	v_fma_f64 v[34:35], v[9:10], s[20:21], v[5:6]
	v_fma_f64 v[36:37], v[9:10], s[20:21], -v[5:6]
	v_fma_f64 v[38:39], v[9:10], s[18:19], v[7:8]
	v_fma_f64 v[40:41], v[9:10], s[18:19], -v[7:8]
	v_add_f64 v[5:6], v[11:12], v[42:43]
	v_add_f64 v[7:8], v[13:14], v[44:45]
	v_mul_f64 v[15:16], v[15:16], s[0:1]
	v_fma_f64 v[82:83], v[9:10], s[12:13], v[21:22]
	v_fma_f64 v[21:22], v[9:10], s[12:13], -v[21:22]
	v_fma_f64 v[84:85], v[9:10], s[2:3], v[23:24]
	v_fma_f64 v[11:12], v[9:10], s[2:3], -v[23:24]
	;; [unrolled: 2-line block ×3, first 2 shown]
	v_fma_f64 v[17:18], v[19:20], s[36:37], v[26:27]
	v_fma_f64 v[23:24], v[19:20], s[38:39], v[26:27]
	;; [unrolled: 1-line block ×3, first 2 shown]
	v_add_f64 v[5:6], v[5:6], v[46:47]
	v_add_f64 v[7:8], v[7:8], v[48:49]
	v_fma_f64 v[28:29], v[19:20], s[44:45], v[28:29]
	v_fma_f64 v[42:43], v[19:20], s[40:41], v[30:31]
	;; [unrolled: 1-line block ×7, first 2 shown]
	v_add_f64 v[19:20], v[1:2], v[34:35]
	v_add_f64 v[34:35], v[1:2], v[36:37]
	;; [unrolled: 1-line block ×4, first 2 shown]
	v_mul_f64 v[40:41], v[80:81], s[44:45]
	v_mul_f64 v[48:49], v[76:77], s[18:19]
	v_add_f64 v[17:18], v[3:4], v[17:18]
	v_add_f64 v[96:97], v[1:2], v[11:12]
	;; [unrolled: 1-line block ×6, first 2 shown]
	v_fma_f64 v[86:87], v[50:51], s[18:19], v[40:41]
	v_fma_f64 v[88:89], v[78:79], s[30:31], v[48:49]
	v_add_f64 v[82:83], v[1:2], v[82:83]
	v_add_f64 v[42:43], v[3:4], v[42:43]
	;; [unrolled: 1-line block ×8, first 2 shown]
	v_fma_f64 v[17:18], v[68:69], s[12:13], v[92:93]
	v_fma_f64 v[19:20], v[72:73], s[40:41], v[94:95]
	v_mul_f64 v[86:87], v[66:67], s[28:29]
	v_mul_f64 v[88:89], v[62:63], s[2:3]
	v_add_f64 v[32:33], v[3:4], v[32:33]
	v_add_f64 v[46:47], v[3:4], v[46:47]
	;; [unrolled: 1-line block ×4, first 2 shown]
	v_fma_f64 v[1:2], v[50:51], s[18:19], -v[40:41]
	v_fma_f64 v[3:4], v[78:79], s[44:45], v[48:49]
	v_add_f64 v[9:10], v[17:18], v[11:12]
	v_add_f64 v[11:12], v[19:20], v[13:14]
	v_fma_f64 v[13:14], v[60:61], s[2:3], v[86:87]
	v_fma_f64 v[15:16], v[64:65], s[48:49], v[88:89]
	v_mul_f64 v[17:18], v[58:59], s[34:35]
	v_mul_f64 v[19:20], v[54:55], s[0:1]
	v_add_f64 v[1:2], v[1:2], v[34:35]
	v_add_f64 v[3:4], v[3:4], v[23:24]
	v_fma_f64 v[23:24], v[68:69], s[12:13], -v[92:93]
	v_fma_f64 v[34:35], v[72:73], s[22:23], v[94:95]
	v_add_f64 v[9:10], v[13:14], v[9:10]
	v_add_f64 v[11:12], v[15:16], v[11:12]
	v_fma_f64 v[13:14], v[52:53], s[0:1], v[17:18]
	v_fma_f64 v[15:16], v[56:57], s[46:47], v[19:20]
	v_mul_f64 v[40:41], v[80:81], s[28:29]
	v_mul_f64 v[48:49], v[76:77], s[2:3]
	v_add_f64 v[23:24], v[23:24], v[1:2]
	v_add_f64 v[34:35], v[34:35], v[3:4]
	;; [unrolled: 10-line block ×7, first 2 shown]
	v_fma_f64 v[40:41], v[52:53], s[20:21], -v[40:41]
	v_fma_f64 v[48:49], v[56:57], s[36:37], v[48:49]
	v_add_f64 v[23:24], v[23:24], v[82:83]
	v_add_f64 v[26:27], v[26:27], v[42:43]
	v_fma_f64 v[42:43], v[68:69], s[18:19], v[28:29]
	v_fma_f64 v[82:83], v[72:73], s[44:45], v[34:35]
	v_mul_f64 v[86:87], v[66:67], s[38:39]
	v_mul_f64 v[88:89], v[62:63], s[20:21]
	v_fma_f64 v[36:37], v[50:51], s[0:1], -v[36:37]
	v_fma_f64 v[38:39], v[78:79], s[46:47], v[38:39]
	v_add_f64 v[17:18], v[40:41], v[17:18]
	v_add_f64 v[19:20], v[48:49], v[19:20]
	;; [unrolled: 1-line block ×4, first 2 shown]
	v_fma_f64 v[40:41], v[60:61], s[20:21], v[86:87]
	v_fma_f64 v[42:43], v[64:65], s[36:37], v[88:89]
	v_mul_f64 v[48:49], v[58:59], s[28:29]
	v_mul_f64 v[82:83], v[54:55], s[2:3]
	v_add_f64 v[21:22], v[36:37], v[21:22]
	v_add_f64 v[30:31], v[38:39], v[30:31]
	v_fma_f64 v[28:29], v[68:69], s[18:19], -v[28:29]
	v_fma_f64 v[34:35], v[72:73], s[30:31], v[34:35]
	v_mul_f64 v[36:37], v[80:81], s[40:41]
	v_add_f64 v[23:24], v[40:41], v[23:24]
	v_add_f64 v[26:27], v[42:43], v[26:27]
	v_mul_f64 v[38:39], v[76:77], s[12:13]
	v_fma_f64 v[40:41], v[52:53], s[2:3], v[48:49]
	v_fma_f64 v[42:43], v[56:57], s[48:49], v[82:83]
	v_add_f64 v[28:29], v[28:29], v[21:22]
	v_add_f64 v[30:31], v[34:35], v[30:31]
	v_fma_f64 v[34:35], v[60:61], s[20:21], -v[86:87]
	v_fma_f64 v[86:87], v[64:65], s[38:39], v[88:89]
	v_fma_f64 v[88:89], v[50:51], s[12:13], v[36:37]
	v_mul_f64 v[94:95], v[74:75], s[38:39]
	v_fma_f64 v[92:93], v[78:79], s[22:23], v[38:39]
	v_add_f64 v[21:22], v[40:41], v[23:24]
	v_add_f64 v[23:24], v[42:43], v[26:27]
	v_fma_f64 v[48:49], v[52:53], s[2:3], -v[48:49]
	v_add_f64 v[26:27], v[34:35], v[28:29]
	v_fma_f64 v[36:37], v[50:51], s[12:13], -v[36:37]
	v_add_f64 v[34:35], v[88:89], v[84:85]
	v_fma_f64 v[42:43], v[68:69], s[20:21], v[94:95]
	v_mul_f64 v[84:85], v[66:67], s[34:35]
	v_fma_f64 v[38:39], v[78:79], s[40:41], v[38:39]
	v_add_f64 v[29:30], v[86:87], v[30:31]
	v_mul_f64 v[86:87], v[62:63], s[0:1]
	v_add_f64 v[27:28], v[48:49], v[26:27]
	v_add_f64 v[36:37], v[36:37], v[96:97]
	v_fma_f64 v[48:49], v[72:73], s[38:39], v[104:105]
	v_add_f64 v[34:35], v[42:43], v[34:35]
	v_fma_f64 v[42:43], v[60:61], s[0:1], v[84:85]
	v_add_f64 v[31:32], v[38:39], v[32:33]
	v_fma_f64 v[38:39], v[68:69], s[20:21], -v[94:95]
	v_add_f64 v[40:41], v[92:93], v[44:45]
	v_fma_f64 v[44:45], v[72:73], s[36:37], v[104:105]
	v_mul_f64 v[80:81], v[80:81], s[36:37]
	v_mul_f64 v[76:77], v[76:77], s[20:21]
	;; [unrolled: 1-line block ×3, first 2 shown]
	v_add_f64 v[33:34], v[42:43], v[34:35]
	v_add_f64 v[31:32], v[48:49], v[31:32]
	;; [unrolled: 1-line block ×3, first 2 shown]
	v_fma_f64 v[37:38], v[60:61], s[0:1], -v[84:85]
	v_fma_f64 v[48:49], v[64:65], s[34:35], v[86:87]
	v_add_f64 v[40:41], v[44:45], v[40:41]
	v_fma_f64 v[44:45], v[64:65], s[46:47], v[86:87]
	v_fma_f64 v[86:87], v[50:51], s[20:21], v[80:81]
	v_fma_f64 v[88:89], v[78:79], s[38:39], v[76:77]
	v_mul_f64 v[70:71], v[70:71], s[2:3]
	v_mul_f64 v[66:67], v[66:67], s[30:31]
	v_add_f64 v[35:36], v[37:38], v[35:36]
	v_add_f64 v[37:38], v[48:49], v[31:32]
	v_fma_f64 v[31:32], v[50:51], s[20:21], -v[80:81]
	v_fma_f64 v[48:49], v[78:79], s[36:37], v[76:77]
	v_add_f64 v[50:51], v[86:87], v[98:99]
	v_add_f64 v[46:47], v[88:89], v[46:47]
	v_fma_f64 v[76:77], v[68:69], s[2:3], v[74:75]
	v_fma_f64 v[78:79], v[72:73], s[48:49], v[70:71]
	v_mul_f64 v[62:63], v[62:63], s[18:19]
	v_fma_f64 v[68:69], v[68:69], s[2:3], -v[74:75]
	v_add_f64 v[31:32], v[31:32], v[100:101]
	v_add_f64 v[48:49], v[48:49], v[102:103]
	v_fma_f64 v[70:71], v[72:73], s[28:29], v[70:71]
	v_fma_f64 v[82:83], v[56:57], s[28:29], v[82:83]
	v_add_f64 v[40:41], v[44:45], v[40:41]
	v_mul_f64 v[42:43], v[58:59], s[30:31]
	v_mul_f64 v[44:45], v[54:55], s[18:19]
	v_add_f64 v[50:51], v[76:77], v[50:51]
	v_add_f64 v[46:47], v[78:79], v[46:47]
	v_fma_f64 v[72:73], v[60:61], s[18:19], v[66:67]
	v_fma_f64 v[74:75], v[64:65], s[44:45], v[62:63]
	v_mul_f64 v[58:59], v[58:59], s[22:23]
	v_mul_f64 v[54:55], v[54:55], s[12:13]
	v_add_f64 v[31:32], v[68:69], v[31:32]
	v_add_f64 v[48:49], v[70:71], v[48:49]
	v_fma_f64 v[60:61], v[60:61], s[18:19], -v[66:67]
	v_fma_f64 v[62:63], v[64:65], s[30:31], v[62:63]
	v_add_f64 v[29:30], v[82:83], v[29:30]
	v_fma_f64 v[82:83], v[52:53], s[18:19], v[42:43]
	v_fma_f64 v[84:85], v[56:57], s[44:45], v[44:45]
	v_fma_f64 v[42:43], v[52:53], s[18:19], -v[42:43]
	v_add_f64 v[50:51], v[72:73], v[50:51]
	v_add_f64 v[46:47], v[74:75], v[46:47]
	v_fma_f64 v[64:65], v[52:53], s[12:13], v[58:59]
	v_fma_f64 v[66:67], v[56:57], s[40:41], v[54:55]
	;; [unrolled: 1-line block ×3, first 2 shown]
	v_add_f64 v[60:61], v[60:61], v[31:32]
	v_add_f64 v[48:49], v[62:63], v[48:49]
	v_fma_f64 v[52:53], v[52:53], s[12:13], -v[58:59]
	v_fma_f64 v[54:55], v[56:57], s[22:23], v[54:55]
	v_add_f64 v[31:32], v[82:83], v[33:34]
	v_add_f64 v[33:34], v[84:85], v[40:41]
	;; [unrolled: 1-line block ×8, first 2 shown]
	v_mad_u32_u24 v26, v25, s27, 0
	v_lshl_add_u32 v47, v134, 4, v26
	ds_write_b128 v47, v[5:8]
	ds_write_b128 v47, v[1:4] offset:176
	ds_write_b128 v47, v[13:16] offset:352
	;; [unrolled: 1-line block ×10, first 2 shown]
	s_waitcnt lgkmcnt(0)
	s_barrier
	s_and_saveexec_b64 s[48:49], vcc
	s_cbranch_execz .LBB0_14
; %bb.13:
	v_mul_lo_u16_e32 v1, 24, v25
	v_mov_b32_e32 v2, 11
	v_mul_lo_u16_sdwa v1, v1, v2 dst_sel:DWORD dst_unused:UNUSED_PAD src0_sel:BYTE_1 src1_sel:DWORD
	v_sub_u16_e32 v1, v25, v1
	v_and_b32_e32 v135, 0xff, v1
	v_mul_u32_u24_e32 v1, 10, v135
	v_lshlrev_b32_e32 v29, 4, v1
	global_load_dwordx4 v[17:20], v29, s[42:43] offset:64
	global_load_dwordx4 v[13:16], v29, s[42:43] offset:80
	;; [unrolled: 1-line block ×6, first 2 shown]
	v_mul_i32_i24_e32 v25, 0xfffff920, v25
	v_lshlrev_b32_e32 v27, 4, v134
	v_add3_u32 v73, v26, v25, v27
	ds_read_b128 v[25:28], v73 offset:9680
	ds_read_b128 v[77:80], v73 offset:7744
	ds_read_b128 v[81:84], v73 offset:11616
	ds_read_b128 v[106:109], v73 offset:13552
	ds_read_b128 v[110:113], v73 offset:5808
	ds_read_b128 v[118:121], v73 offset:3872
	ds_read_b128 v[122:125], v73 offset:15488
	ds_read_b128 v[126:129], v73 offset:17424
	global_load_dwordx4 v[130:133], v29, s[42:43] offset:16
	global_load_dwordx4 v[142:145], v29, s[42:43] offset:128
	v_add_u32_e32 v30, 0x6e, v135
	v_mul_lo_u32 v162, v91, v30
	v_mov_b32_e32 v136, 4
	v_mov_b32_e32 v137, 0x1000
	global_load_dwordx4 v[146:149], v29, s[42:43]
	global_load_dwordx4 v[150:153], v29, s[42:43] offset:144
	v_lshlrev_b32_sdwa v29, v136, v162 dst_sel:DWORD dst_unused:UNUSED_PAD src0_sel:DWORD src1_sel:BYTE_0
	v_bfe_u32 v30, v162, 8, 8
	v_lshl_or_b32 v30, v30, 4, v137
	global_load_dwordx4 v[154:157], v29, s[16:17]
	global_load_dwordx4 v[158:161], v30, s[16:17]
	v_add_u32_e32 v31, 0x63, v135
	v_add_u32_e32 v32, 0x58, v135
	;; [unrolled: 1-line block ×3, first 2 shown]
	v_mul_lo_u32 v163, v91, v31
	v_add_u32_e32 v33, 0x4d, v135
	v_add_u32_e32 v35, 55, v135
	v_mul_lo_u32 v164, v91, v32
	v_mul_lo_u32 v75, v91, v34
	v_add_u32_e32 v36, 44, v135
	v_mul_lo_u32 v76, v91, v33
	v_mul_lo_u32 v74, v91, v35
	;; [unrolled: 1-line block ×3, first 2 shown]
	v_bfe_u32 v32, v163, 8, 8
	v_lshlrev_b32_sdwa v31, v136, v163 dst_sel:DWORD dst_unused:UNUSED_PAD src0_sel:DWORD src1_sel:BYTE_0
	v_lshlrev_b32_sdwa v33, v136, v164 dst_sel:DWORD dst_unused:UNUSED_PAD src0_sel:DWORD src1_sel:BYTE_0
	;; [unrolled: 1-line block ×3, first 2 shown]
	v_lshl_or_b32 v29, v32, 4, v137
	v_bfe_u32 v34, v164, 8, 8
	v_bfe_u32 v35, v76, 8, 8
	;; [unrolled: 1-line block ×4, first 2 shown]
	global_load_dwordx4 v[49:52], v33, s[16:17]
	global_load_dwordx4 v[53:56], v31, s[16:17]
	;; [unrolled: 1-line block ×3, first 2 shown]
	v_lshlrev_b32_sdwa v37, v136, v76 dst_sel:DWORD dst_unused:UNUSED_PAD src0_sel:DWORD src1_sel:BYTE_0
	global_load_dwordx4 v[29:32], v36, s[16:17]
	v_lshlrev_b32_sdwa v39, v136, v74 dst_sel:DWORD dst_unused:UNUSED_PAD src0_sel:DWORD src1_sel:BYTE_0
	v_lshlrev_b32_sdwa v41, v136, v139 dst_sel:DWORD dst_unused:UNUSED_PAD src0_sel:DWORD src1_sel:BYTE_0
	v_lshl_or_b32 v42, v34, 4, v137
	v_lshl_or_b32 v43, v35, 4, v137
	;; [unrolled: 1-line block ×4, first 2 shown]
	global_load_dwordx4 v[33:36], v41, s[16:17]
	global_load_dwordx4 v[61:64], v42, s[16:17]
                                        ; kill: killed $vgpr41
                                        ; kill: killed $vgpr42
	global_load_dwordx4 v[65:68], v37, s[16:17]
	global_load_dwordx4 v[69:72], v43, s[16:17]
	s_nop 0
	global_load_dwordx4 v[41:44], v38, s[16:17]
	s_nop 0
	;; [unrolled: 2-line block ×3, first 2 shown]
	global_load_dwordx4 v[45:48], v45, s[16:17]
	v_mov_b32_e32 v138, 0x2000
	s_add_u32 s6, s24, s6
	s_addc_u32 s7, s25, s7
	s_waitcnt vmcnt(22) lgkmcnt(7)
	v_mul_f64 v[85:86], v[27:28], v[19:20]
	s_waitcnt vmcnt(21) lgkmcnt(5)
	v_mul_f64 v[87:88], v[83:84], v[15:16]
	v_mul_f64 v[15:16], v[81:82], v[15:16]
	s_waitcnt vmcnt(20)
	v_mul_f64 v[89:90], v[79:80], v[23:24]
	v_mul_f64 v[23:24], v[77:78], v[23:24]
	s_waitcnt vmcnt(19) lgkmcnt(4)
	v_mul_f64 v[92:93], v[108:109], v[7:8]
	v_mul_f64 v[7:8], v[106:107], v[7:8]
	s_waitcnt vmcnt(18) lgkmcnt(3)
	v_mul_f64 v[114:115], v[112:113], v[11:12]
	v_fma_f64 v[100:101], v[25:26], v[17:18], v[85:86]
	v_fma_f64 v[96:97], v[81:82], v[13:14], v[87:88]
	v_fma_f64 v[94:95], v[83:84], v[13:14], -v[15:16]
	v_add_u32_e32 v13, 33, v135
	v_mul_lo_u32 v141, v91, v13
	v_bfe_u32 v13, v139, 8, 8
	v_lshl_or_b32 v13, v13, 4, v137
	v_fma_f64 v[102:103], v[79:80], v[21:22], -v[23:24]
	global_load_dwordx4 v[79:82], v13, s[16:17]
	v_lshlrev_b32_sdwa v13, v136, v141 dst_sel:DWORD dst_unused:UNUSED_PAD src0_sel:DWORD src1_sel:BYTE_0
	v_bfe_u32 v14, v141, 8, 8
	v_fma_f64 v[104:105], v[77:78], v[21:22], v[89:90]
	v_lshl_or_b32 v14, v14, 4, v137
	global_load_dwordx4 v[83:86], v13, s[16:17]
	global_load_dwordx4 v[87:90], v14, s[16:17]
	v_mul_f64 v[11:12], v[110:111], v[11:12]
	s_waitcnt vmcnt(20) lgkmcnt(1)
	v_mul_f64 v[116:117], v[124:125], v[3:4]
	v_mul_f64 v[3:4], v[122:123], v[3:4]
	s_waitcnt vmcnt(18) lgkmcnt(0)
	v_mul_f64 v[13:14], v[126:127], v[144:145]
	v_fma_f64 v[92:93], v[106:107], v[5:6], v[92:93]
	v_fma_f64 v[108:109], v[108:109], v[5:6], -v[7:8]
	v_mul_f64 v[5:6], v[120:121], v[132:133]
	v_mul_f64 v[7:8], v[128:129], v[144:145]
	v_fma_f64 v[114:115], v[110:111], v[9:10], v[114:115]
	v_fma_f64 v[112:113], v[112:113], v[9:10], -v[11:12]
	v_mul_f64 v[9:10], v[118:119], v[132:133]
	v_fma_f64 v[110:111], v[122:123], v[1:2], v[116:117]
	v_fma_f64 v[106:107], v[124:125], v[1:2], -v[3:4]
	v_add_u32_e32 v1, 22, v135
	v_mul_lo_u32 v140, v91, v1
	v_fma_f64 v[122:123], v[128:129], v[142:143], -v[13:14]
	v_bfe_u32 v13, v162, 16, 8
	v_lshl_or_b32 v13, v13, 4, v138
	v_lshlrev_b32_sdwa v1, v136, v140 dst_sel:DWORD dst_unused:UNUSED_PAD src0_sel:DWORD src1_sel:BYTE_0
	v_fma_f64 v[118:119], v[118:119], v[130:131], v[5:6]
	v_fma_f64 v[116:117], v[126:127], v[142:143], v[7:8]
	global_load_dwordx4 v[5:8], v1, s[16:17]
	v_fma_f64 v[120:121], v[120:121], v[130:131], -v[9:10]
	global_load_dwordx4 v[13:16], v13, s[16:17]
	v_bfe_u32 v1, v140, 8, 8
	v_lshl_or_b32 v1, v1, 4, v137
	global_load_dwordx4 v[9:12], v1, s[16:17]
	v_mul_f64 v[19:20], v[25:26], v[19:20]
	ds_read_b128 v[21:24], v73 offset:19360
	s_waitcnt vmcnt(17)
	v_mul_f64 v[142:143], v[156:157], v[160:161]
	v_mul_f64 v[144:145], v[154:155], v[160:161]
	v_add_f64 v[166:167], v[112:113], -v[106:107]
	v_add_f64 v[172:173], v[112:113], v[106:107]
	s_waitcnt lgkmcnt(0)
	v_mul_f64 v[126:127], v[23:24], v[152:153]
	v_mul_f64 v[132:133], v[21:22], v[152:153]
	v_fma_f64 v[98:99], v[27:28], v[17:18], -v[19:20]
	ds_read_b128 v[25:28], v73 offset:1936
	v_bfe_u32 v17, v163, 16, 8
	v_lshl_or_b32 v17, v17, 4, v138
	global_load_dwordx4 v[17:20], v17, s[16:17]
	ds_read_b128 v[1:4], v73
	s_waitcnt lgkmcnt(1)
	v_mul_f64 v[77:78], v[27:28], v[148:149]
	v_mul_f64 v[124:125], v[25:26], v[148:149]
	v_fma_f64 v[126:127], v[21:22], v[150:151], v[126:127]
	s_waitcnt vmcnt(15)
	v_mul_f64 v[148:149], v[53:54], v[59:60]
	s_waitcnt vmcnt(9)
	v_mul_f64 v[152:153], v[31:32], v[43:44]
	v_mul_f64 v[43:44], v[29:30], v[43:44]
	v_bfe_u32 v21, v164, 16, 8
	v_add_f64 v[162:163], v[118:119], v[116:117]
	v_fma_f64 v[130:131], v[25:26], v[146:147], v[77:78]
	v_fma_f64 v[128:129], v[27:28], v[146:147], -v[124:125]
	v_fma_f64 v[124:125], v[23:24], v[150:151], -v[132:133]
	v_mul_f64 v[146:147], v[55:56], v[59:60]
	v_fma_f64 v[59:60], v[154:155], v[158:159], -v[142:143]
	v_fma_f64 v[132:133], v[156:157], v[158:159], v[144:145]
	v_mul_f64 v[142:143], v[51:52], v[63:64]
	v_mul_f64 v[63:64], v[49:50], v[63:64]
	;; [unrolled: 1-line block ×4, first 2 shown]
	v_bfe_u32 v71, v75, 16, 8
	v_fma_f64 v[146:147], v[53:54], v[57:58], -v[146:147]
	v_fma_f64 v[55:56], v[55:56], v[57:58], v[148:149]
	v_lshl_or_b32 v71, v71, 4, v138
	v_fma_f64 v[57:58], v[49:50], v[61:62], -v[142:143]
	v_fma_f64 v[61:62], v[51:52], v[61:62], v[63:64]
	v_fma_f64 v[63:64], v[65:66], v[69:70], -v[144:145]
	v_fma_f64 v[65:66], v[67:68], v[69:70], v[150:151]
	v_fma_f64 v[67:68], v[29:30], v[41:42], -v[152:153]
	s_waitcnt vmcnt(7)
	v_mul_f64 v[29:30], v[39:40], v[47:48]
	v_mul_f64 v[69:70], v[37:38], v[47:48]
	v_bfe_u32 v47, v139, 16, 8
	v_lshl_or_b32 v47, v47, 4, v138
	v_bfe_u32 v25, v76, 16, 8
	global_load_dwordx4 v[75:78], v71, s[16:17]
	global_load_dwordx4 v[51:54], v47, s[16:17]
	v_bfe_u32 v47, v141, 16, 8
	s_waitcnt vmcnt(8)
	v_mul_f64 v[141:142], v[35:36], v[81:82]
	v_mul_f64 v[81:82], v[33:34], v[81:82]
	v_add_f64 v[148:149], v[130:131], -v[126:127]
	s_waitcnt vmcnt(6)
	v_mul_f64 v[143:144], v[85:86], v[89:90]
	v_mul_f64 v[89:90], v[83:84], v[89:90]
	v_fma_f64 v[152:153], v[37:38], v[45:46], -v[29:30]
	v_fma_f64 v[45:46], v[39:40], v[45:46], v[69:70]
	v_add_u32_e32 v37, 11, v135
	v_fma_f64 v[69:70], v[33:34], v[79:80], -v[141:142]
	v_fma_f64 v[150:151], v[31:32], v[41:42], v[43:44]
	v_fma_f64 v[79:80], v[35:36], v[79:80], v[81:82]
	v_fma_f64 v[33:34], v[83:84], v[87:88], -v[143:144]
	v_add_f64 v[83:84], v[128:129], -v[124:125]
	v_fma_f64 v[35:36], v[85:86], v[87:88], v[89:90]
	v_mul_f64 v[29:30], v[148:149], s[38:39]
	v_add_f64 v[31:32], v[128:129], v[124:125]
	v_add_f64 v[81:82], v[118:119], -v[116:117]
	v_mul_lo_u32 v250, v91, v37
	v_bfe_u32 v37, v140, 16, 8
	v_add_f64 v[87:88], v[130:131], v[126:127]
	v_mul_f64 v[89:90], v[83:84], s[38:39]
	v_add_f64 v[139:140], v[120:121], -v[122:123]
	v_add_f64 v[154:155], v[120:121], v[122:123]
	v_fma_f64 v[141:142], v[31:32], s[20:21], v[29:30]
	v_mul_f64 v[143:144], v[81:82], s[44:45]
	v_add_f64 v[156:157], v[114:115], -v[110:111]
	v_add_f64 v[174:175], v[104:105], -v[92:93]
	v_add_f64 v[178:179], v[114:115], v[110:111]
	v_fma_f64 v[160:161], v[87:88], s[20:21], -v[89:90]
	v_mul_f64 v[164:165], v[139:140], s[44:45]
	s_waitcnt vmcnt(3)
	v_mul_f64 v[85:86], v[7:8], v[11:12]
	s_waitcnt lgkmcnt(0)
	v_add_f64 v[141:142], v[3:4], v[141:142]
	v_fma_f64 v[168:169], v[154:155], s[18:19], v[143:144]
	v_mul_f64 v[170:171], v[156:157], s[22:23]
	v_mul_f64 v[180:181], v[166:167], s[22:23]
	v_add_f64 v[182:183], v[102:103], -v[108:109]
	v_add_f64 v[160:161], v[1:2], v[160:161]
	v_fma_f64 v[176:177], v[162:163], s[18:19], -v[164:165]
	v_lshl_or_b32 v21, v21, 4, v138
	global_load_dwordx4 v[21:24], v21, s[16:17]
	v_mul_f64 v[11:12], v[5:6], v[11:12]
	v_fma_f64 v[85:86], v[5:6], v[9:10], -v[85:86]
	v_add_f64 v[5:6], v[168:169], v[141:142]
	v_fma_f64 v[141:142], v[172:173], s[12:13], v[170:171]
	v_mul_f64 v[168:169], v[174:175], s[28:29]
	v_add_f64 v[184:185], v[102:103], v[108:109]
	v_add_f64 v[160:161], v[176:177], v[160:161]
	v_fma_f64 v[176:177], v[178:179], s[12:13], -v[180:181]
	v_add_f64 v[186:187], v[104:105], v[92:93]
	v_mul_f64 v[188:189], v[182:183], s[28:29]
	v_add_f64 v[192:193], v[98:99], -v[94:95]
	v_add_f64 v[194:195], v[100:101], -v[96:97]
	v_fma_f64 v[190:191], v[7:8], v[9:10], v[11:12]
	v_add_f64 v[5:6], v[141:142], v[5:6]
	v_fma_f64 v[7:8], v[184:185], s[2:3], v[168:169]
	v_add_f64 v[9:10], v[176:177], v[160:161]
	v_mul_f64 v[141:142], v[83:84], s[44:45]
	v_fma_f64 v[11:12], v[186:187], s[2:3], -v[188:189]
	v_add_f64 v[160:161], v[100:101], v[96:97]
	v_mul_f64 v[176:177], v[192:193], s[34:35]
	v_mul_f64 v[196:197], v[194:195], s[34:35]
	v_add_f64 v[198:199], v[98:99], v[94:95]
	v_mul_f64 v[200:201], v[148:149], s[44:45]
	v_mul_f64 v[158:159], v[132:133], v[15:16]
	;; [unrolled: 1-line block ×3, first 2 shown]
	v_fma_f64 v[202:203], v[87:88], s[18:19], -v[141:142]
	v_mul_f64 v[204:205], v[139:140], s[28:29]
	v_add_f64 v[5:6], v[7:8], v[5:6]
	v_add_f64 v[7:8], v[11:12], v[9:10]
	v_fma_f64 v[9:10], v[160:161], s[0:1], -v[176:177]
	v_fma_f64 v[11:12], v[198:199], s[0:1], v[196:197]
	v_fma_f64 v[206:207], v[31:32], s[18:19], v[200:201]
	v_mul_f64 v[208:209], v[81:82], s[28:29]
	v_add_f64 v[202:203], v[1:2], v[202:203]
	v_fma_f64 v[210:211], v[162:163], s[2:3], -v[204:205]
	v_mul_f64 v[212:213], v[166:167], s[46:47]
	v_fma_f64 v[15:16], v[13:14], v[132:133], v[15:16]
	v_add_f64 v[9:10], v[9:10], v[7:8]
	v_add_f64 v[5:6], v[11:12], v[5:6]
	;; [unrolled: 1-line block ×3, first 2 shown]
	v_fma_f64 v[11:12], v[154:155], s[2:3], v[208:209]
	v_mul_f64 v[132:133], v[156:157], s[46:47]
	v_lshl_or_b32 v25, v25, 4, v138
	global_load_dwordx4 v[25:28], v25, s[16:17]
	v_add_f64 v[202:203], v[210:211], v[202:203]
	v_fma_f64 v[206:207], v[178:179], s[0:1], -v[212:213]
	v_mul_f64 v[210:211], v[182:183], s[40:41]
	v_fma_f64 v[13:14], v[13:14], v[59:60], -v[158:159]
	v_add_f64 v[7:8], v[11:12], v[7:8]
	v_fma_f64 v[11:12], v[172:173], s[0:1], v[132:133]
	v_mul_f64 v[158:159], v[174:175], s[40:41]
	v_mul_f64 v[214:215], v[192:193], s[36:37]
	s_waitcnt vmcnt(4)
	v_mul_f64 v[216:217], v[55:56], v[19:20]
	v_add_f64 v[202:203], v[206:207], v[202:203]
	v_fma_f64 v[206:207], v[186:187], s[12:13], -v[210:211]
	v_mul_f64 v[218:219], v[148:149], s[22:23]
	v_mul_f64 v[19:20], v[146:147], v[19:20]
	v_add_f64 v[7:8], v[11:12], v[7:8]
	v_mul_f64 v[220:221], v[83:84], s[22:23]
	v_fma_f64 v[11:12], v[184:185], s[12:13], v[158:159]
	v_mul_f64 v[222:223], v[194:195], s[36:37]
	v_mul_f64 v[226:227], v[81:82], s[46:47]
	v_add_f64 v[202:203], v[206:207], v[202:203]
	v_fma_f64 v[206:207], v[160:161], s[20:21], -v[214:215]
	v_fma_f64 v[224:225], v[31:32], s[12:13], v[218:219]
	v_fma_f64 v[19:20], v[17:18], v[55:56], v[19:20]
	v_fma_f64 v[55:56], v[87:88], s[12:13], -v[220:221]
	v_mul_f64 v[228:229], v[139:140], s[46:47]
	v_add_f64 v[7:8], v[11:12], v[7:8]
	v_fma_f64 v[11:12], v[198:199], s[20:21], v[222:223]
	v_mul_f64 v[59:60], v[9:10], v[15:16]
	v_mul_f64 v[15:16], v[5:6], v[15:16]
	v_add_f64 v[202:203], v[206:207], v[202:203]
	v_add_f64 v[206:207], v[3:4], v[224:225]
	v_fma_f64 v[224:225], v[154:155], s[0:1], v[226:227]
	v_mul_f64 v[230:231], v[156:157], s[30:31]
	v_add_f64 v[55:56], v[1:2], v[55:56]
	v_fma_f64 v[232:233], v[162:163], s[0:1], -v[228:229]
	v_mul_f64 v[234:235], v[166:167], s[30:31]
	v_add_f64 v[11:12], v[11:12], v[7:8]
	v_fma_f64 v[17:18], v[17:18], v[146:147], -v[216:217]
	v_mul_f64 v[145:146], v[202:203], v[19:20]
	v_add_f64 v[206:207], v[224:225], v[206:207]
	v_fma_f64 v[216:217], v[172:173], s[18:19], v[230:231]
	v_mul_f64 v[224:225], v[174:175], s[38:39]
	v_add_f64 v[55:56], v[232:233], v[55:56]
	v_fma_f64 v[232:233], v[178:179], s[18:19], -v[234:235]
	v_mul_f64 v[236:237], v[182:183], s[38:39]
	v_fma_f64 v[7:8], v[5:6], v[13:14], -v[59:60]
	v_fma_f64 v[5:6], v[9:10], v[13:14], v[15:16]
	v_mul_f64 v[9:10], v[11:12], v[19:20]
	v_fma_f64 v[11:12], v[11:12], v[17:18], -v[145:146]
	v_add_f64 v[13:14], v[216:217], v[206:207]
	v_fma_f64 v[15:16], v[184:185], s[20:21], v[224:225]
	v_add_f64 v[19:20], v[232:233], v[55:56]
	v_fma_f64 v[55:56], v[186:187], s[20:21], -v[236:237]
	v_mul_f64 v[145:146], v[192:193], s[28:29]
	v_mul_f64 v[206:207], v[194:195], s[28:29]
	;; [unrolled: 1-line block ×3, first 2 shown]
	v_fma_f64 v[9:10], v[202:203], v[17:18], v[9:10]
	v_mul_f64 v[202:203], v[83:84], s[28:29]
	s_waitcnt vmcnt(1)
	v_mul_f64 v[17:18], v[57:58], v[23:24]
	v_add_f64 v[13:14], v[15:16], v[13:14]
	v_add_f64 v[15:16], v[55:56], v[19:20]
	v_fma_f64 v[19:20], v[160:161], s[2:3], -v[145:146]
	v_fma_f64 v[55:56], v[198:199], s[2:3], v[206:207]
	v_fma_f64 v[216:217], v[31:32], s[2:3], v[59:60]
	v_mul_f64 v[232:233], v[81:82], s[40:41]
	v_fma_f64 v[238:239], v[87:88], s[2:3], -v[202:203]
	v_mul_f64 v[240:241], v[139:140], s[40:41]
	v_mul_f64 v[23:24], v[61:62], v[23:24]
	v_fma_f64 v[17:18], v[21:22], v[61:62], v[17:18]
	v_add_f64 v[19:20], v[19:20], v[15:16]
	v_add_f64 v[13:14], v[55:56], v[13:14]
	;; [unrolled: 1-line block ×3, first 2 shown]
	v_fma_f64 v[55:56], v[154:155], s[12:13], v[232:233]
	v_mul_f64 v[61:62], v[156:157], s[38:39]
	v_add_f64 v[216:217], v[1:2], v[238:239]
	v_fma_f64 v[238:239], v[162:163], s[12:13], -v[240:241]
	v_mul_f64 v[242:243], v[166:167], s[38:39]
	v_bfe_u32 v71, v74, 16, 8
	v_lshl_or_b32 v71, v71, 4, v138
	global_load_dwordx4 v[71:74], v71, s[16:17]
	v_fma_f64 v[21:22], v[21:22], v[57:58], -v[23:24]
	v_mul_f64 v[23:24], v[19:20], v[17:18]
	v_mul_f64 v[17:18], v[13:14], v[17:18]
	v_add_f64 v[55:56], v[55:56], v[15:16]
	v_fma_f64 v[57:58], v[172:173], s[20:21], v[61:62]
	v_mul_f64 v[244:245], v[174:175], s[34:35]
	v_add_f64 v[216:217], v[238:239], v[216:217]
	v_fma_f64 v[238:239], v[178:179], s[20:21], -v[242:243]
	v_mul_f64 v[246:247], v[182:183], s[34:35]
	v_fma_f64 v[15:16], v[13:14], v[21:22], -v[23:24]
	v_fma_f64 v[13:14], v[19:20], v[21:22], v[17:18]
	v_mul_f64 v[147:148], v[148:149], s[34:35]
	v_add_f64 v[17:18], v[57:58], v[55:56]
	v_fma_f64 v[19:20], v[184:185], s[0:1], v[244:245]
	v_mul_f64 v[55:56], v[192:193], s[30:31]
	v_add_f64 v[21:22], v[238:239], v[216:217]
	v_fma_f64 v[23:24], v[186:187], s[0:1], -v[246:247]
	v_mul_f64 v[57:58], v[194:195], s[30:31]
	s_waitcnt vmcnt(1)
	v_mul_f64 v[216:217], v[65:66], v[27:28]
	v_mul_f64 v[27:28], v[63:64], v[27:28]
	;; [unrolled: 1-line block ×3, first 2 shown]
	v_add_f64 v[17:18], v[19:20], v[17:18]
	v_fma_f64 v[238:239], v[31:32], s[0:1], v[147:148]
	v_mul_f64 v[81:82], v[81:82], s[36:37]
	v_add_f64 v[19:20], v[23:24], v[21:22]
	v_fma_f64 v[21:22], v[160:161], s[18:19], -v[55:56]
	v_fma_f64 v[23:24], v[198:199], s[18:19], v[57:58]
	v_fma_f64 v[63:64], v[25:26], v[63:64], -v[216:217]
	v_fma_f64 v[216:217], v[87:88], s[0:1], -v[83:84]
	v_mul_f64 v[139:140], v[139:140], s[36:37]
	v_fma_f64 v[25:26], v[25:26], v[65:66], v[27:28]
	v_mul_f64 v[27:28], v[156:157], s[28:29]
	v_mul_f64 v[166:167], v[166:167], s[28:29]
	v_add_f64 v[21:22], v[21:22], v[19:20]
	v_add_f64 v[17:18], v[23:24], v[17:18]
	;; [unrolled: 1-line block ×3, first 2 shown]
	v_fma_f64 v[23:24], v[154:155], s[20:21], v[81:82]
	v_add_f64 v[65:66], v[1:2], v[216:217]
	v_fma_f64 v[156:157], v[162:163], s[20:21], -v[139:140]
	v_lshl_or_b32 v47, v47, 4, v138
	global_load_dwordx4 v[47:50], v47, s[16:17]
	v_mul_f64 v[216:217], v[21:22], v[25:26]
	v_mul_f64 v[25:26], v[17:18], v[25:26]
	v_fma_f64 v[248:249], v[172:173], s[2:3], v[27:28]
	v_add_f64 v[23:24], v[23:24], v[19:20]
	v_mul_f64 v[174:175], v[174:175], s[30:31]
	v_add_f64 v[65:66], v[156:157], v[65:66]
	v_fma_f64 v[156:157], v[178:179], s[2:3], -v[166:167]
	v_mul_f64 v[182:183], v[182:183], s[30:31]
	v_fma_f64 v[19:20], v[17:18], v[63:64], -v[216:217]
	v_mul_f64 v[17:18], v[67:68], v[77:78]
	;; [unrolled: 2-line block ×3, first 2 shown]
	v_add_f64 v[23:24], v[248:249], v[23:24]
	v_fma_f64 v[77:78], v[184:185], s[18:19], v[174:175]
	v_add_f64 v[65:66], v[156:157], v[65:66]
	v_fma_f64 v[156:157], v[186:187], s[18:19], -v[182:183]
	v_mul_f64 v[192:193], v[192:193], s[22:23]
	v_fma_f64 v[17:18], v[75:76], v[150:151], v[17:18]
	v_fma_f64 v[83:84], v[87:88], s[0:1], v[83:84]
	v_fma_f64 v[81:82], v[154:155], s[20:21], -v[81:82]
	v_add_f64 v[147:148], v[3:4], v[147:148]
	v_fma_f64 v[149:150], v[87:88], s[2:3], v[202:203]
	v_lshl_or_b32 v37, v37, 4, v138
	v_add_f64 v[23:24], v[77:78], v[23:24]
	v_add_f64 v[65:66], v[156:157], v[65:66]
	v_fma_f64 v[77:78], v[160:161], s[12:13], -v[192:193]
	v_fma_f64 v[139:140], v[162:163], s[20:21], v[139:140]
	v_add_f64 v[83:84], v[1:2], v[83:84]
	v_add_f64 v[81:82], v[81:82], v[147:148]
	v_fma_f64 v[27:28], v[172:173], s[2:3], -v[27:28]
	v_fma_f64 v[59:60], v[31:32], s[2:3], -v[59:60]
	v_fma_f64 v[147:148], v[162:163], s[12:13], v[240:241]
	v_add_f64 v[149:150], v[1:2], v[149:150]
	global_load_dwordx4 v[37:40], v37, s[16:17]
	v_fma_f64 v[67:68], v[75:76], v[67:68], -v[238:239]
	v_mul_f64 v[75:76], v[194:195], s[22:23]
	v_add_f64 v[65:66], v[77:78], v[65:66]
	v_add_f64 v[77:78], v[139:140], v[83:84]
	v_fma_f64 v[83:84], v[178:179], s[2:3], v[166:167]
	v_add_f64 v[27:28], v[27:28], v[81:82]
	v_fma_f64 v[81:82], v[154:155], s[12:13], -v[232:233]
	v_add_f64 v[59:60], v[3:4], v[59:60]
	v_add_f64 v[139:140], v[147:148], v[149:150]
	v_fma_f64 v[147:148], v[178:179], s[20:21], v[242:243]
	v_fma_f64 v[156:157], v[198:199], s[12:13], v[75:76]
	v_fma_f64 v[149:150], v[184:185], s[18:19], -v[174:175]
	v_add_f64 v[77:78], v[83:84], v[77:78]
	v_fma_f64 v[83:84], v[186:187], s[18:19], v[182:183]
	v_fma_f64 v[61:62], v[172:173], s[20:21], -v[61:62]
	v_add_f64 v[59:60], v[81:82], v[59:60]
	v_fma_f64 v[75:76], v[198:199], s[12:13], -v[75:76]
	v_add_f64 v[81:82], v[147:148], v[139:140]
	v_fma_f64 v[139:140], v[186:187], s[0:1], v[246:247]
	v_add_f64 v[23:24], v[156:157], v[23:24]
	s_waitcnt vmcnt(2)
	v_mul_f64 v[156:157], v[45:46], v[73:74]
	v_mul_f64 v[73:74], v[152:153], v[73:74]
	v_add_f64 v[27:28], v[149:150], v[27:28]
	v_add_f64 v[77:78], v[83:84], v[77:78]
	v_fma_f64 v[83:84], v[160:161], s[12:13], v[192:193]
	v_mul_f64 v[147:148], v[69:70], v[53:54]
	v_add_f64 v[59:60], v[61:62], v[59:60]
	v_fma_f64 v[61:62], v[184:185], s[0:1], -v[244:245]
	v_add_f64 v[81:82], v[139:140], v[81:82]
	v_fma_f64 v[55:56], v[160:161], s[18:19], v[55:56]
	v_fma_f64 v[45:46], v[71:72], v[45:46], v[73:74]
	v_add_f64 v[27:28], v[75:76], v[27:28]
	v_add_f64 v[73:74], v[83:84], v[77:78]
	v_mul_f64 v[53:54], v[79:80], v[53:54]
	v_fma_f64 v[75:76], v[51:52], v[79:80], v[147:148]
	v_add_f64 v[59:60], v[61:62], v[59:60]
	v_fma_f64 v[57:58], v[198:199], s[18:19], -v[57:58]
	v_add_f64 v[77:78], v[55:56], v[81:82]
	v_mul_f64 v[55:56], v[65:66], v[17:18]
	v_fma_f64 v[71:72], v[71:72], v[152:153], -v[156:157]
	v_mul_f64 v[79:80], v[73:74], v[45:46]
	v_mul_f64 v[45:46], v[27:28], v[45:46]
	v_fma_f64 v[69:70], v[51:52], v[69:70], -v[53:54]
	v_mul_f64 v[61:62], v[23:24], v[17:18]
	v_add_f64 v[51:52], v[57:58], v[59:60]
	v_mul_f64 v[53:54], v[77:78], v[75:76]
	v_fma_f64 v[23:24], v[23:24], v[67:68], -v[55:56]
	v_fma_f64 v[55:56], v[31:32], s[12:13], -v[218:219]
	v_bfe_u32 v41, v250, 16, 8
	v_fma_f64 v[17:18], v[21:22], v[63:64], v[25:26]
	v_fma_f64 v[25:26], v[73:74], v[71:72], v[45:46]
	v_lshl_or_b32 v41, v41, 4, v138
	global_load_dwordx4 v[41:44], v41, s[16:17]
	v_mul_f64 v[45:46], v[51:52], v[75:76]
	v_fma_f64 v[51:52], v[51:52], v[69:70], -v[53:54]
	v_bfe_u32 v54, v250, 8, 8
	v_lshlrev_b32_sdwa v53, v136, v250 dst_sel:DWORD dst_unused:UNUSED_PAD src0_sel:DWORD src1_sel:BYTE_0
	v_lshl_or_b32 v57, v54, 4, v137
	v_add_f64 v[75:76], v[3:4], v[55:56]
	global_load_dwordx4 v[53:56], v53, s[16:17]
	s_nop 0
	global_load_dwordx4 v[57:60], v57, s[16:17]
	v_mul_lo_u32 v91, v91, v135
	v_fma_f64 v[21:22], v[65:66], v[67:68], v[61:62]
	v_fma_f64 v[27:28], v[27:28], v[71:72], -v[79:80]
	s_waitcnt vmcnt(4)
	v_mul_f64 v[71:72], v[35:36], v[49:50]
	v_bfe_u32 v61, v91, 8, 8
	v_lshlrev_b32_sdwa v65, v136, v91 dst_sel:DWORD dst_unused:UNUSED_PAD src0_sel:DWORD src1_sel:BYTE_0
	v_lshl_or_b32 v61, v61, 4, v137
	global_load_dwordx4 v[61:64], v61, s[16:17]
	s_nop 0
	global_load_dwordx4 v[65:68], v65, s[16:17]
	v_mul_f64 v[73:74], v[33:34], v[49:50]
	v_fma_f64 v[49:50], v[154:155], s[0:1], -v[226:227]
	v_fma_f64 v[79:80], v[87:88], s[12:13], v[220:221]
	v_fma_f64 v[81:82], v[172:173], s[18:19], -v[230:231]
	v_fma_f64 v[83:84], v[162:163], s[0:1], v[228:229]
	v_fma_f64 v[29:30], v[31:32], s[20:21], -v[29:30]
	s_load_dwordx2 s[6:7], s[6:7], 0x0
	v_add_f64 v[75:76], v[49:50], v[75:76]
	v_fma_f64 v[49:50], v[77:78], v[69:70], v[45:46]
	v_fma_f64 v[45:46], v[47:48], v[33:34], -v[71:72]
	v_bfe_u32 v33, v91, 16, 8
	v_lshl_or_b32 v33, v33, 4, v138
	v_add_f64 v[79:80], v[1:2], v[79:80]
	v_fma_f64 v[47:48], v[47:48], v[35:36], v[73:74]
	global_load_dwordx4 v[33:36], v33, s[16:17]
	s_waitcnt vmcnt(6)
	v_mul_f64 v[69:70], v[190:191], v[39:40]
	v_mul_f64 v[39:40], v[85:86], v[39:40]
	v_add_f64 v[71:72], v[81:82], v[75:76]
	v_fma_f64 v[73:74], v[184:185], s[20:21], -v[224:225]
	v_fma_f64 v[77:78], v[31:32], s[18:19], -v[200:201]
	v_add_f64 v[75:76], v[83:84], v[79:80]
	v_fma_f64 v[79:80], v[178:179], s[18:19], v[234:235]
	v_fma_f64 v[81:82], v[154:155], s[2:3], -v[208:209]
	v_fma_f64 v[69:70], v[37:38], v[85:86], -v[69:70]
	v_fma_f64 v[37:38], v[37:38], v[190:191], v[39:40]
	v_fma_f64 v[83:84], v[186:187], s[20:21], v[236:237]
	v_add_f64 v[39:40], v[73:74], v[71:72]
	v_fma_f64 v[73:74], v[198:199], s[2:3], -v[206:207]
	v_fma_f64 v[71:72], v[87:88], s[18:19], v[141:142]
	v_add_f64 v[77:78], v[3:4], v[77:78]
	v_add_f64 v[75:76], v[79:80], v[75:76]
	;; [unrolled: 1-line block ×3, first 2 shown]
	v_fma_f64 v[85:86], v[162:163], s[2:3], v[204:205]
	v_add_f64 v[39:40], v[73:74], v[39:40]
	v_add_f64 v[73:74], v[3:4], v[128:129]
	;; [unrolled: 1-line block ×4, first 2 shown]
	v_fma_f64 v[81:82], v[172:173], s[0:1], -v[132:133]
	v_add_f64 v[79:80], v[79:80], v[118:119]
	v_add_f64 v[75:76], v[83:84], v[75:76]
	v_fma_f64 v[83:84], v[160:161], s[2:3], v[145:146]
	v_add_f64 v[3:4], v[3:4], v[29:30]
	v_add_f64 v[31:32], v[73:74], v[120:121]
	;; [unrolled: 1-line block ×3, first 2 shown]
	v_fma_f64 v[73:74], v[178:179], s[0:1], v[212:213]
	v_add_f64 v[77:78], v[81:82], v[77:78]
	v_add_f64 v[79:80], v[79:80], v[114:115]
	v_fma_f64 v[81:82], v[184:185], s[12:13], -v[158:159]
	v_add_f64 v[75:76], v[83:84], v[75:76]
	v_fma_f64 v[83:84], v[154:155], s[18:19], -v[143:144]
	v_add_f64 v[29:30], v[31:32], v[112:113]
	v_fma_f64 v[85:86], v[178:179], s[12:13], v[180:181]
	v_add_f64 v[31:32], v[73:74], v[71:72]
	v_fma_f64 v[71:72], v[186:187], s[12:13], v[210:211]
	v_add_f64 v[73:74], v[79:80], v[104:105]
	v_add_f64 v[77:78], v[81:82], v[77:78]
	v_fma_f64 v[81:82], v[172:173], s[12:13], -v[170:171]
	v_add_f64 v[3:4], v[83:84], v[3:4]
	v_fma_f64 v[83:84], v[87:88], s[20:21], v[89:90]
	v_add_f64 v[29:30], v[29:30], v[102:103]
	v_fma_f64 v[79:80], v[198:199], s[20:21], -v[222:223]
	v_add_f64 v[31:32], v[71:72], v[31:32]
	v_add_f64 v[71:72], v[73:74], v[100:101]
	v_fma_f64 v[87:88], v[186:187], s[2:3], v[188:189]
	v_fma_f64 v[73:74], v[160:161], s[20:21], v[214:215]
	v_add_f64 v[3:4], v[81:82], v[3:4]
	v_add_f64 v[1:2], v[1:2], v[83:84]
	v_fma_f64 v[81:82], v[162:163], s[18:19], v[164:165]
	v_add_f64 v[29:30], v[29:30], v[98:99]
	v_add_f64 v[77:78], v[79:80], v[77:78]
	v_fma_f64 v[79:80], v[184:185], s[2:3], -v[168:169]
	v_add_f64 v[71:72], v[71:72], v[96:97]
	v_fma_f64 v[83:84], v[198:199], s[0:1], -v[196:197]
	v_add_f64 v[73:74], v[73:74], v[31:32]
	v_mul_f64 v[31:32], v[75:76], v[47:48]
	v_add_f64 v[1:2], v[81:82], v[1:2]
	s_waitcnt vmcnt(3)
	v_mul_f64 v[81:82], v[55:56], v[59:60]
	v_add_f64 v[29:30], v[29:30], v[94:95]
	v_add_f64 v[3:4], v[79:80], v[3:4]
	;; [unrolled: 1-line block ×3, first 2 shown]
	s_waitcnt vmcnt(1)
	v_mul_f64 v[79:80], v[67:68], v[63:64]
	v_mul_f64 v[59:60], v[53:54], v[59:60]
	;; [unrolled: 1-line block ×3, first 2 shown]
	v_add_f64 v[1:2], v[85:86], v[1:2]
	v_fma_f64 v[53:54], v[53:54], v[57:58], -v[81:82]
	v_add_f64 v[29:30], v[29:30], v[108:109]
	v_mul_f64 v[47:48], v[39:40], v[47:48]
	v_add_f64 v[71:72], v[71:72], v[110:111]
	v_fma_f64 v[65:66], v[65:66], v[61:62], -v[79:80]
	v_fma_f64 v[55:56], v[55:56], v[57:58], v[59:60]
	v_fma_f64 v[57:58], v[160:161], s[0:1], v[176:177]
	v_add_f64 v[1:2], v[87:88], v[1:2]
	v_mul_f64 v[59:60], v[53:54], v[43:44]
	v_add_f64 v[29:30], v[29:30], v[106:107]
	v_fma_f64 v[61:62], v[67:68], v[61:62], v[63:64]
	v_add_f64 v[63:64], v[71:72], v[116:117]
	s_waitcnt vmcnt(0)
	v_mul_f64 v[67:68], v[65:66], v[35:36]
	v_add_f64 v[71:72], v[83:84], v[3:4]
	v_mul_f64 v[3:4], v[55:56], v[43:44]
	v_add_f64 v[43:44], v[57:58], v[1:2]
	v_fma_f64 v[1:2], v[41:42], v[55:56], v[59:60]
	v_add_f64 v[29:30], v[29:30], v[122:123]
	v_mul_f64 v[35:36], v[61:62], v[35:36]
	v_add_f64 v[55:56], v[63:64], v[126:127]
	v_fma_f64 v[57:58], v[33:34], v[61:62], v[67:68]
	s_waitcnt lgkmcnt(0)
	s_mul_i32 s0, s7, s26
	v_fma_f64 v[41:42], v[41:42], v[53:54], -v[3:4]
	v_fma_f64 v[3:4], v[39:40], v[45:46], -v[31:32]
	v_mul_f64 v[53:54], v[43:44], v[1:2]
	v_mul_f64 v[61:62], v[71:72], v[1:2]
	v_add_f64 v[59:60], v[29:30], v[124:125]
	v_fma_f64 v[63:64], v[33:34], v[65:66], -v[35:36]
	v_fma_f64 v[1:2], v[75:76], v[45:46], v[47:48]
	v_mul_f64 v[29:30], v[73:74], v[37:38]
	v_mul_f64 v[37:38], v[77:78], v[37:38]
	;; [unrolled: 1-line block ×3, first 2 shown]
	v_fma_f64 v[35:36], v[71:72], v[41:42], -v[53:54]
	v_fma_f64 v[33:34], v[43:44], v[41:42], v[61:62]
	v_mad_u64_u32 v[41:42], s[2:3], s10, v134, 0
	s_movk_i32 s2, 0x21e
	v_mul_u32_u24_sdwa v43, v0, s2 dst_sel:DWORD dst_unused:UNUSED_PAD src0_sel:WORD_0 src1_sel:DWORD
	s_movk_i32 s2, 0x79
	v_mul_lo_u16_sdwa v43, v43, s2 dst_sel:DWORD dst_unused:UNUSED_PAD src0_sel:WORD_1 src1_sel:DWORD
	v_sub_u16_e32 v43, v0, v43
	v_sub_u32_e32 v0, v0, v43
	v_add_u32_e32 v48, v0, v135
	v_mul_f64 v[57:58], v[59:60], v[57:58]
	v_mad_u64_u32 v[43:44], s[2:3], s8, v48, 0
	v_mov_b32_e32 v0, v42
	s_mul_hi_u32 s1, s6, s26
	v_mad_u64_u32 v[45:46], s[2:3], s11, v134, v[0:1]
	s_add_i32 s1, s1, s0
	s_mul_i32 s0, s6, s26
	v_mov_b32_e32 v0, v44
	v_mad_u64_u32 v[46:47], s[2:3], s9, v48, v[0:1]
	s_lshl_b64 s[0:1], s[0:1], 4
	s_add_u32 s2, s14, s0
	v_mov_b32_e32 v42, v45
	s_addc_u32 s3, s15, s1
	s_lshl_b64 s[0:1], s[4:5], 4
	v_fma_f64 v[31:32], v[77:78], v[69:70], -v[29:30]
	v_fma_f64 v[29:30], v[73:74], v[69:70], v[37:38]
	v_fma_f64 v[39:40], v[59:60], v[63:64], -v[65:66]
	v_fma_f64 v[37:38], v[55:56], v[63:64], v[57:58]
	s_add_u32 s0, s2, s0
	v_lshlrev_b64 v[41:42], 4, v[41:42]
	s_addc_u32 s1, s3, s1
	v_mov_b32_e32 v44, v46
	v_mov_b32_e32 v0, s1
	v_add_co_u32_e32 v45, vcc, s0, v41
	v_add_u32_e32 v47, 11, v48
	v_addc_co_u32_e32 v46, vcc, v0, v42, vcc
	v_lshlrev_b64 v[41:42], 4, v[43:44]
	v_mad_u64_u32 v[43:44], s[0:1], s8, v47, 0
	v_add_co_u32_e32 v41, vcc, v45, v41
	v_addc_co_u32_e32 v42, vcc, v46, v42, vcc
	v_mov_b32_e32 v0, v44
	global_store_dwordx4 v[41:42], v[37:40], off
	v_add_u32_e32 v42, 22, v48
	v_mad_u64_u32 v[37:38], s[0:1], s9, v47, v[0:1]
	v_mad_u64_u32 v[38:39], s[0:1], s8, v42, 0
	v_mov_b32_e32 v44, v37
	v_lshlrev_b64 v[40:41], 4, v[43:44]
	v_mov_b32_e32 v0, v39
	v_mad_u64_u32 v[42:43], s[0:1], s9, v42, v[0:1]
	v_add_co_u32_e32 v39, vcc, v45, v40
	v_addc_co_u32_e32 v40, vcc, v46, v41, vcc
	v_add_u32_e32 v37, 33, v48
	global_store_dwordx4 v[39:40], v[33:36], off
	v_mov_b32_e32 v39, v42
	v_mad_u64_u32 v[35:36], s[0:1], s8, v37, 0
	v_lshlrev_b64 v[33:34], 4, v[38:39]
	v_add_co_u32_e32 v33, vcc, v45, v33
	v_addc_co_u32_e32 v34, vcc, v46, v34, vcc
	v_mov_b32_e32 v0, v36
	global_store_dwordx4 v[33:34], v[29:32], off
	v_add_u32_e32 v34, 44, v48
	v_mad_u64_u32 v[29:30], s[0:1], s9, v37, v[0:1]
	v_mad_u64_u32 v[30:31], s[0:1], s8, v34, 0
	v_mov_b32_e32 v36, v29
	v_lshlrev_b64 v[32:33], 4, v[35:36]
	v_mov_b32_e32 v0, v31
	v_mad_u64_u32 v[34:35], s[0:1], s9, v34, v[0:1]
	v_add_co_u32_e32 v31, vcc, v45, v32
	v_addc_co_u32_e32 v32, vcc, v46, v33, vcc
	global_store_dwordx4 v[31:32], v[1:4], off
	v_mov_b32_e32 v31, v34
	v_add_u32_e32 v4, 55, v48
	v_lshlrev_b64 v[0:1], 4, v[30:31]
	v_mad_u64_u32 v[2:3], s[0:1], s8, v4, 0
	v_add_co_u32_e32 v0, vcc, v45, v0
	v_addc_co_u32_e32 v1, vcc, v46, v1, vcc
	global_store_dwordx4 v[0:1], v[49:52], off
	v_mov_b32_e32 v0, v3
	v_mad_u64_u32 v[0:1], s[0:1], s9, v4, v[0:1]
	v_add_u32_e32 v4, 0x42, v48
	v_mad_u64_u32 v[29:30], s[0:1], s8, v4, 0
	v_mov_b32_e32 v3, v0
	v_lshlrev_b64 v[0:1], 4, v[2:3]
	v_mov_b32_e32 v2, v30
	v_mad_u64_u32 v[2:3], s[0:1], s9, v4, v[2:3]
	v_add_co_u32_e32 v0, vcc, v45, v0
	v_addc_co_u32_e32 v1, vcc, v46, v1, vcc
	v_mov_b32_e32 v30, v2
	v_add_u32_e32 v4, 0x4d, v48
	global_store_dwordx4 v[0:1], v[25:28], off
	v_lshlrev_b64 v[0:1], 4, v[29:30]
	v_mad_u64_u32 v[2:3], s[0:1], s8, v4, 0
	v_add_co_u32_e32 v0, vcc, v45, v0
	v_addc_co_u32_e32 v1, vcc, v46, v1, vcc
	global_store_dwordx4 v[0:1], v[21:24], off
	v_mov_b32_e32 v0, v3
	v_mad_u64_u32 v[0:1], s[0:1], s9, v4, v[0:1]
	v_add_u32_e32 v4, 0x58, v48
	v_mad_u64_u32 v[21:22], s[0:1], s8, v4, 0
	v_mov_b32_e32 v3, v0
	v_lshlrev_b64 v[0:1], 4, v[2:3]
	v_mov_b32_e32 v2, v22
	v_mad_u64_u32 v[2:3], s[0:1], s9, v4, v[2:3]
	v_add_co_u32_e32 v0, vcc, v45, v0
	v_addc_co_u32_e32 v1, vcc, v46, v1, vcc
	v_mov_b32_e32 v22, v2
	v_add_u32_e32 v4, 0x63, v48
	global_store_dwordx4 v[0:1], v[17:20], off
	v_lshlrev_b64 v[0:1], 4, v[21:22]
	v_mad_u64_u32 v[2:3], s[0:1], s8, v4, 0
	v_add_co_u32_e32 v0, vcc, v45, v0
	v_addc_co_u32_e32 v1, vcc, v46, v1, vcc
	global_store_dwordx4 v[0:1], v[13:16], off
	v_mov_b32_e32 v0, v3
	v_mad_u64_u32 v[0:1], s[0:1], s9, v4, v[0:1]
	v_add_u32_e32 v4, 0x6e, v48
	v_mad_u64_u32 v[13:14], s[0:1], s8, v4, 0
	v_mov_b32_e32 v3, v0
	v_lshlrev_b64 v[0:1], 4, v[2:3]
	v_mov_b32_e32 v2, v14
	v_mad_u64_u32 v[2:3], s[0:1], s9, v4, v[2:3]
	v_add_co_u32_e32 v0, vcc, v45, v0
	v_addc_co_u32_e32 v1, vcc, v46, v1, vcc
	v_mov_b32_e32 v14, v2
	global_store_dwordx4 v[0:1], v[9:12], off
	v_lshlrev_b64 v[0:1], 4, v[13:14]
	v_add_co_u32_e32 v0, vcc, v45, v0
	v_addc_co_u32_e32 v1, vcc, v46, v1, vcc
	global_store_dwordx4 v[0:1], v[5:8], off
.LBB0_14:
	s_endpgm
	.section	.rodata,"a",@progbits
	.p2align	6, 0x0
	.amdhsa_kernel fft_rtc_back_len121_factors_11_11_wgs_121_tpt_11_dp_op_CI_CI_sbcc_twdbase8_3step_dirReg_intrinsicRead
		.amdhsa_group_segment_fixed_size 0
		.amdhsa_private_segment_fixed_size 0
		.amdhsa_kernarg_size 112
		.amdhsa_user_sgpr_count 6
		.amdhsa_user_sgpr_private_segment_buffer 1
		.amdhsa_user_sgpr_dispatch_ptr 0
		.amdhsa_user_sgpr_queue_ptr 0
		.amdhsa_user_sgpr_kernarg_segment_ptr 1
		.amdhsa_user_sgpr_dispatch_id 0
		.amdhsa_user_sgpr_flat_scratch_init 0
		.amdhsa_user_sgpr_private_segment_size 0
		.amdhsa_uses_dynamic_stack 0
		.amdhsa_system_sgpr_private_segment_wavefront_offset 0
		.amdhsa_system_sgpr_workgroup_id_x 1
		.amdhsa_system_sgpr_workgroup_id_y 0
		.amdhsa_system_sgpr_workgroup_id_z 0
		.amdhsa_system_sgpr_workgroup_info 0
		.amdhsa_system_vgpr_workitem_id 0
		.amdhsa_next_free_vgpr 251
		.amdhsa_next_free_sgpr 55
		.amdhsa_reserve_vcc 1
		.amdhsa_reserve_flat_scratch 0
		.amdhsa_float_round_mode_32 0
		.amdhsa_float_round_mode_16_64 0
		.amdhsa_float_denorm_mode_32 3
		.amdhsa_float_denorm_mode_16_64 3
		.amdhsa_dx10_clamp 1
		.amdhsa_ieee_mode 1
		.amdhsa_fp16_overflow 0
		.amdhsa_exception_fp_ieee_invalid_op 0
		.amdhsa_exception_fp_denorm_src 0
		.amdhsa_exception_fp_ieee_div_zero 0
		.amdhsa_exception_fp_ieee_overflow 0
		.amdhsa_exception_fp_ieee_underflow 0
		.amdhsa_exception_fp_ieee_inexact 0
		.amdhsa_exception_int_div_zero 0
	.end_amdhsa_kernel
	.text
.Lfunc_end0:
	.size	fft_rtc_back_len121_factors_11_11_wgs_121_tpt_11_dp_op_CI_CI_sbcc_twdbase8_3step_dirReg_intrinsicRead, .Lfunc_end0-fft_rtc_back_len121_factors_11_11_wgs_121_tpt_11_dp_op_CI_CI_sbcc_twdbase8_3step_dirReg_intrinsicRead
                                        ; -- End function
	.section	.AMDGPU.csdata,"",@progbits
; Kernel info:
; codeLenInByte = 10392
; NumSgprs: 59
; NumVgprs: 251
; ScratchSize: 0
; MemoryBound: 0
; FloatMode: 240
; IeeeMode: 1
; LDSByteSize: 0 bytes/workgroup (compile time only)
; SGPRBlocks: 7
; VGPRBlocks: 62
; NumSGPRsForWavesPerEU: 59
; NumVGPRsForWavesPerEU: 251
; Occupancy: 1
; WaveLimiterHint : 1
; COMPUTE_PGM_RSRC2:SCRATCH_EN: 0
; COMPUTE_PGM_RSRC2:USER_SGPR: 6
; COMPUTE_PGM_RSRC2:TRAP_HANDLER: 0
; COMPUTE_PGM_RSRC2:TGID_X_EN: 1
; COMPUTE_PGM_RSRC2:TGID_Y_EN: 0
; COMPUTE_PGM_RSRC2:TGID_Z_EN: 0
; COMPUTE_PGM_RSRC2:TIDIG_COMP_CNT: 0
	.type	__hip_cuid_e08d163cedfd15ba,@object ; @__hip_cuid_e08d163cedfd15ba
	.section	.bss,"aw",@nobits
	.globl	__hip_cuid_e08d163cedfd15ba
__hip_cuid_e08d163cedfd15ba:
	.byte	0                               ; 0x0
	.size	__hip_cuid_e08d163cedfd15ba, 1

	.ident	"AMD clang version 19.0.0git (https://github.com/RadeonOpenCompute/llvm-project roc-6.4.0 25133 c7fe45cf4b819c5991fe208aaa96edf142730f1d)"
	.section	".note.GNU-stack","",@progbits
	.addrsig
	.addrsig_sym __hip_cuid_e08d163cedfd15ba
	.amdgpu_metadata
---
amdhsa.kernels:
  - .args:
      - .actual_access:  read_only
        .address_space:  global
        .offset:         0
        .size:           8
        .value_kind:     global_buffer
      - .address_space:  global
        .offset:         8
        .size:           8
        .value_kind:     global_buffer
      - .offset:         16
        .size:           8
        .value_kind:     by_value
      - .actual_access:  read_only
        .address_space:  global
        .offset:         24
        .size:           8
        .value_kind:     global_buffer
      - .actual_access:  read_only
        .address_space:  global
        .offset:         32
        .size:           8
        .value_kind:     global_buffer
      - .actual_access:  read_only
        .address_space:  global
        .offset:         40
        .size:           8
        .value_kind:     global_buffer
      - .offset:         48
        .size:           8
        .value_kind:     by_value
      - .actual_access:  read_only
        .address_space:  global
        .offset:         56
        .size:           8
        .value_kind:     global_buffer
      - .actual_access:  read_only
        .address_space:  global
        .offset:         64
        .size:           8
        .value_kind:     global_buffer
      - .offset:         72
        .size:           4
        .value_kind:     by_value
      - .actual_access:  read_only
        .address_space:  global
        .offset:         80
        .size:           8
        .value_kind:     global_buffer
      - .actual_access:  read_only
        .address_space:  global
        .offset:         88
        .size:           8
        .value_kind:     global_buffer
      - .address_space:  global
        .offset:         96
        .size:           8
        .value_kind:     global_buffer
      - .actual_access:  write_only
        .address_space:  global
        .offset:         104
        .size:           8
        .value_kind:     global_buffer
    .group_segment_fixed_size: 0
    .kernarg_segment_align: 8
    .kernarg_segment_size: 112
    .language:       OpenCL C
    .language_version:
      - 2
      - 0
    .max_flat_workgroup_size: 121
    .name:           fft_rtc_back_len121_factors_11_11_wgs_121_tpt_11_dp_op_CI_CI_sbcc_twdbase8_3step_dirReg_intrinsicRead
    .private_segment_fixed_size: 0
    .sgpr_count:     59
    .sgpr_spill_count: 0
    .symbol:         fft_rtc_back_len121_factors_11_11_wgs_121_tpt_11_dp_op_CI_CI_sbcc_twdbase8_3step_dirReg_intrinsicRead.kd
    .uniform_work_group_size: 1
    .uses_dynamic_stack: false
    .vgpr_count:     251
    .vgpr_spill_count: 0
    .wavefront_size: 64
amdhsa.target:   amdgcn-amd-amdhsa--gfx906
amdhsa.version:
  - 1
  - 2
...

	.end_amdgpu_metadata
